;; amdgpu-corpus repo=ROCm/rocFFT kind=compiled arch=gfx1201 opt=O3
	.text
	.amdgcn_target "amdgcn-amd-amdhsa--gfx1201"
	.amdhsa_code_object_version 6
	.protected	fft_rtc_back_len192_factors_4_3_16_wgs_256_tpt_16_dim3_sp_ip_CI_sbcc_twdbase8_2step_dirReg_intrinsicReadWrite ; -- Begin function fft_rtc_back_len192_factors_4_3_16_wgs_256_tpt_16_dim3_sp_ip_CI_sbcc_twdbase8_2step_dirReg_intrinsicReadWrite
	.globl	fft_rtc_back_len192_factors_4_3_16_wgs_256_tpt_16_dim3_sp_ip_CI_sbcc_twdbase8_2step_dirReg_intrinsicReadWrite
	.p2align	8
	.type	fft_rtc_back_len192_factors_4_3_16_wgs_256_tpt_16_dim3_sp_ip_CI_sbcc_twdbase8_2step_dirReg_intrinsicReadWrite,@function
fft_rtc_back_len192_factors_4_3_16_wgs_256_tpt_16_dim3_sp_ip_CI_sbcc_twdbase8_2step_dirReg_intrinsicReadWrite: ; @fft_rtc_back_len192_factors_4_3_16_wgs_256_tpt_16_dim3_sp_ip_CI_sbcc_twdbase8_2step_dirReg_intrinsicReadWrite
; %bb.0:
	s_load_b128 s[4:7], s[0:1], 0x10
	s_mov_b32 s10, ttmp9
	s_mov_b32 s11, 0
	s_mov_b64 s[16:17], 0
	s_wait_kmcnt 0x0
	s_load_b64 s[2:3], s[4:5], 0x8
	s_wait_kmcnt 0x0
	s_add_nc_u64 s[8:9], s[2:3], -1
	s_delay_alu instid0(SALU_CYCLE_1) | instskip(NEXT) | instid1(SALU_CYCLE_1)
	s_lshr_b64 s[8:9], s[8:9], 4
	s_add_nc_u64 s[12:13], s[8:9], 1
	s_delay_alu instid0(SALU_CYCLE_1) | instskip(NEXT) | instid1(VALU_DEP_1)
	v_cmp_lt_u64_e64 s8, s[10:11], s[12:13]
	s_and_b32 vcc_lo, exec_lo, s8
	s_cbranch_vccnz .LBB0_2
; %bb.1:
	v_cvt_f32_u32_e32 v1, s12
	s_sub_co_i32 s9, 0, s12
	s_mov_b32 s17, s11
	s_delay_alu instid0(VALU_DEP_1) | instskip(NEXT) | instid1(TRANS32_DEP_1)
	v_rcp_iflag_f32_e32 v1, v1
	v_mul_f32_e32 v1, 0x4f7ffffe, v1
	s_delay_alu instid0(VALU_DEP_1) | instskip(NEXT) | instid1(VALU_DEP_1)
	v_cvt_u32_f32_e32 v1, v1
	v_readfirstlane_b32 s8, v1
	s_delay_alu instid0(VALU_DEP_1) | instskip(NEXT) | instid1(SALU_CYCLE_1)
	s_mul_i32 s9, s9, s8
	s_mul_hi_u32 s9, s8, s9
	s_delay_alu instid0(SALU_CYCLE_1) | instskip(NEXT) | instid1(SALU_CYCLE_1)
	s_add_co_i32 s8, s8, s9
	s_mul_hi_u32 s8, s10, s8
	s_delay_alu instid0(SALU_CYCLE_1) | instskip(SKIP_2) | instid1(SALU_CYCLE_1)
	s_mul_i32 s9, s8, s12
	s_add_co_i32 s14, s8, 1
	s_sub_co_i32 s9, s10, s9
	s_sub_co_i32 s15, s9, s12
	s_cmp_ge_u32 s9, s12
	s_cselect_b32 s8, s14, s8
	s_cselect_b32 s9, s15, s9
	s_add_co_i32 s14, s8, 1
	s_cmp_ge_u32 s9, s12
	s_cselect_b32 s16, s14, s8
.LBB0_2:
	s_load_b64 s[22:23], s[4:5], 0x10
	s_load_b64 s[14:15], s[6:7], 0x8
	s_mov_b64 s[18:19], s[16:17]
	s_wait_kmcnt 0x0
	v_cmp_lt_u64_e64 s4, s[16:17], s[22:23]
	s_delay_alu instid0(VALU_DEP_1)
	s_and_b32 vcc_lo, exec_lo, s4
	s_cbranch_vccnz .LBB0_4
; %bb.3:
	v_cvt_f32_u32_e32 v1, s22
	s_sub_co_i32 s5, 0, s22
	s_mov_b32 s19, 0
	s_delay_alu instid0(VALU_DEP_1) | instskip(NEXT) | instid1(TRANS32_DEP_1)
	v_rcp_iflag_f32_e32 v1, v1
	v_mul_f32_e32 v1, 0x4f7ffffe, v1
	s_delay_alu instid0(VALU_DEP_1) | instskip(NEXT) | instid1(VALU_DEP_1)
	v_cvt_u32_f32_e32 v1, v1
	v_readfirstlane_b32 s4, v1
	s_delay_alu instid0(VALU_DEP_1) | instskip(NEXT) | instid1(SALU_CYCLE_1)
	s_mul_i32 s5, s5, s4
	s_mul_hi_u32 s5, s4, s5
	s_delay_alu instid0(SALU_CYCLE_1) | instskip(NEXT) | instid1(SALU_CYCLE_1)
	s_add_co_i32 s4, s4, s5
	s_mul_hi_u32 s4, s16, s4
	s_delay_alu instid0(SALU_CYCLE_1) | instskip(NEXT) | instid1(SALU_CYCLE_1)
	s_mul_i32 s4, s4, s22
	s_sub_co_i32 s4, s16, s4
	s_delay_alu instid0(SALU_CYCLE_1) | instskip(SKIP_2) | instid1(SALU_CYCLE_1)
	s_sub_co_i32 s5, s4, s22
	s_cmp_ge_u32 s4, s22
	s_cselect_b32 s4, s5, s4
	s_sub_co_i32 s5, s4, s22
	s_cmp_ge_u32 s4, s22
	s_cselect_b32 s18, s5, s4
.LBB0_4:
	s_load_b64 s[4:5], s[0:1], 0x50
	s_clause 0x1
	s_load_b64 s[8:9], s[6:7], 0x0
	s_load_b64 s[20:21], s[6:7], 0x10
	s_mul_u64 s[24:25], s[22:23], s[12:13]
	s_mov_b64 s[22:23], 0
	s_wait_kmcnt 0x0
	v_cmp_lt_u64_e64 s9, s[10:11], s[24:25]
	s_delay_alu instid0(VALU_DEP_1)
	s_and_b32 vcc_lo, exec_lo, s9
	s_cbranch_vccnz .LBB0_6
; %bb.5:
	v_cvt_f32_u32_e32 v1, s24
	s_sub_co_i32 s22, 0, s24
	s_delay_alu instid0(VALU_DEP_1) | instskip(NEXT) | instid1(TRANS32_DEP_1)
	v_rcp_iflag_f32_e32 v1, v1
	v_mul_f32_e32 v1, 0x4f7ffffe, v1
	s_delay_alu instid0(VALU_DEP_1) | instskip(NEXT) | instid1(VALU_DEP_1)
	v_cvt_u32_f32_e32 v1, v1
	v_readfirstlane_b32 s9, v1
	s_wait_alu 0xfffe
	s_delay_alu instid0(VALU_DEP_1) | instskip(SKIP_4) | instid1(SALU_CYCLE_1)
	s_mul_i32 s22, s22, s9
	s_wait_alu 0xfffe
	s_mul_hi_u32 s22, s9, s22
	s_wait_alu 0xfffe
	s_add_co_i32 s9, s9, s22
	s_mul_hi_u32 s9, s10, s9
	s_delay_alu instid0(SALU_CYCLE_1)
	s_mul_i32 s22, s9, s24
	s_add_co_i32 s23, s9, 1
	s_wait_alu 0xfffe
	s_sub_co_i32 s22, s10, s22
	s_wait_alu 0xfffe
	s_sub_co_i32 s25, s22, s24
	s_cmp_ge_u32 s22, s24
	s_cselect_b32 s9, s23, s9
	s_wait_alu 0xfffe
	s_cselect_b32 s22, s25, s22
	s_add_co_i32 s25, s9, 1
	s_wait_alu 0xfffe
	s_cmp_ge_u32 s22, s24
	s_mov_b32 s23, 0
	s_cselect_b32 s22, s25, s9
.LBB0_6:
	s_load_b64 s[6:7], s[6:7], 0x18
	v_dual_mov_b32 v2, 0 :: v_dual_and_b32 v27, 15, v0
	s_mul_u64 s[12:13], s[16:17], s[12:13]
	s_mul_u64 s[16:17], s[20:21], s[18:19]
	s_wait_alu 0xfffe
	s_sub_nc_u64 s[10:11], s[10:11], s[12:13]
	v_mad_co_u64_u32 v[37:38], null, s14, v27, 0
	s_wait_alu 0xfffe
	s_lshl_b64 s[10:11], s[10:11], 4
	v_lshrrev_b32_e32 v33, 4, v0
	s_wait_alu 0xfffe
	v_or_b32_e32 v39, s10, v27
	v_mov_b32_e32 v40, s11
	s_mul_u64 s[12:13], s[14:15], s[10:11]
	s_add_nc_u64 s[10:11], s[10:11], 16
	v_mov_b32_e32 v1, v38
	s_wait_alu 0xfffe
	v_cmp_le_u64_e64 s9, s[10:11], s[2:3]
	v_cmp_gt_u64_e32 vcc_lo, s[2:3], v[39:40]
	s_add_nc_u64 s[12:13], s[16:17], s[12:13]
	v_mad_co_u64_u32 v[3:4], null, s15, v27, v[1:2]
	v_dual_mov_b32 v4, 0 :: v_dual_mov_b32 v3, 0
	s_wait_kmcnt 0x0
	s_mul_u64 s[2:3], s[6:7], s[22:23]
	s_wait_alu 0xfffe
	s_add_nc_u64 s[6:7], s[2:3], s[12:13]
	s_or_b32 s3, s9, vcc_lo
	s_wait_alu 0xfffe
	s_and_saveexec_b32 s7, s3
	s_cbranch_execz .LBB0_8
; %bb.7:
	v_mul_lo_u32 v1, s8, v33
	v_mov_b32_e32 v4, 0
	s_delay_alu instid0(VALU_DEP_2) | instskip(NEXT) | instid1(VALU_DEP_1)
	v_add3_u32 v3, s6, v37, v1
	v_lshlrev_b64_e32 v[3:4], 3, v[3:4]
	s_delay_alu instid0(VALU_DEP_1) | instskip(SKIP_1) | instid1(VALU_DEP_2)
	v_add_co_u32 v3, s2, s4, v3
	s_wait_alu 0xf1ff
	v_add_co_ci_u32_e64 v4, s2, s5, v4, s2
	global_load_b64 v[3:4], v[3:4], off
.LBB0_8:
	s_or_b32 exec_lo, exec_lo, s7
	v_or_b32_e32 v25, 48, v33
	v_mov_b32_e32 v1, 0
	s_and_saveexec_b32 s7, s3
	s_cbranch_execz .LBB0_10
; %bb.9:
	s_delay_alu instid0(VALU_DEP_2) | instskip(SKIP_1) | instid1(VALU_DEP_2)
	v_mul_lo_u32 v1, s8, v25
	v_mov_b32_e32 v2, 0
	v_add3_u32 v1, s6, v37, v1
	s_delay_alu instid0(VALU_DEP_1) | instskip(NEXT) | instid1(VALU_DEP_1)
	v_lshlrev_b64_e32 v[1:2], 3, v[1:2]
	v_add_co_u32 v1, s2, s4, v1
	s_wait_alu 0xf1ff
	s_delay_alu instid0(VALU_DEP_2)
	v_add_co_ci_u32_e64 v2, s2, s5, v2, s2
	global_load_b64 v[1:2], v[1:2], off
.LBB0_10:
	s_wait_alu 0xfffe
	s_or_b32 exec_lo, exec_lo, s7
	v_dual_mov_b32 v6, 0 :: v_dual_mov_b32 v7, 0
	v_mov_b32_e32 v8, 0
	s_and_saveexec_b32 s7, s3
	s_cbranch_execz .LBB0_12
; %bb.11:
	v_or_b32_e32 v5, 0x60, v33
	v_mov_b32_e32 v8, 0
	s_delay_alu instid0(VALU_DEP_2) | instskip(NEXT) | instid1(VALU_DEP_1)
	v_mul_lo_u32 v5, s8, v5
	v_add3_u32 v7, s6, v37, v5
	s_delay_alu instid0(VALU_DEP_1) | instskip(NEXT) | instid1(VALU_DEP_1)
	v_lshlrev_b64_e32 v[7:8], 3, v[7:8]
	v_add_co_u32 v7, s2, s4, v7
	s_wait_alu 0xf1ff
	s_delay_alu instid0(VALU_DEP_2)
	v_add_co_ci_u32_e64 v8, s2, s5, v8, s2
	global_load_b64 v[7:8], v[7:8], off
.LBB0_12:
	s_wait_alu 0xfffe
	s_or_b32 exec_lo, exec_lo, s7
	v_mov_b32_e32 v5, 0
	s_and_saveexec_b32 s7, s3
	s_cbranch_execz .LBB0_14
; %bb.13:
	v_or_b32_e32 v5, 0x90, v33
	v_mov_b32_e32 v6, 0
	s_delay_alu instid0(VALU_DEP_2) | instskip(NEXT) | instid1(VALU_DEP_1)
	v_mul_lo_u32 v5, s8, v5
	v_add3_u32 v5, s6, v37, v5
	s_delay_alu instid0(VALU_DEP_1) | instskip(NEXT) | instid1(VALU_DEP_1)
	v_lshlrev_b64_e32 v[5:6], 3, v[5:6]
	v_add_co_u32 v5, s2, s4, v5
	s_wait_alu 0xf1ff
	s_delay_alu instid0(VALU_DEP_2)
	v_add_co_ci_u32_e64 v6, s2, s5, v6, s2
	global_load_b64 v[5:6], v[5:6], off
.LBB0_14:
	s_wait_alu 0xfffe
	s_or_b32 exec_lo, exec_lo, s7
	v_or_b32_e32 v26, 16, v33
	v_dual_mov_b32 v10, 0 :: v_dual_mov_b32 v11, 0
	v_mov_b32_e32 v12, 0
	s_and_saveexec_b32 s7, s3
	s_cbranch_execz .LBB0_16
; %bb.15:
	v_mul_lo_u32 v9, s8, v26
	v_mov_b32_e32 v12, 0
	s_delay_alu instid0(VALU_DEP_2) | instskip(NEXT) | instid1(VALU_DEP_1)
	v_add3_u32 v11, s6, v37, v9
	v_lshlrev_b64_e32 v[11:12], 3, v[11:12]
	s_delay_alu instid0(VALU_DEP_1) | instskip(SKIP_1) | instid1(VALU_DEP_2)
	v_add_co_u32 v11, s2, s4, v11
	s_wait_alu 0xf1ff
	v_add_co_ci_u32_e64 v12, s2, s5, v12, s2
	global_load_b64 v[11:12], v[11:12], off
.LBB0_16:
	s_wait_alu 0xfffe
	s_or_b32 exec_lo, exec_lo, s7
	v_mov_b32_e32 v9, 0
	s_and_saveexec_b32 s7, s3
	s_cbranch_execz .LBB0_18
; %bb.17:
	v_or_b32_e32 v9, 64, v33
	v_mov_b32_e32 v10, 0
	s_delay_alu instid0(VALU_DEP_2) | instskip(NEXT) | instid1(VALU_DEP_1)
	v_mul_lo_u32 v9, s8, v9
	v_add3_u32 v9, s6, v37, v9
	s_delay_alu instid0(VALU_DEP_1) | instskip(NEXT) | instid1(VALU_DEP_1)
	v_lshlrev_b64_e32 v[9:10], 3, v[9:10]
	v_add_co_u32 v9, s2, s4, v9
	s_wait_alu 0xf1ff
	s_delay_alu instid0(VALU_DEP_2)
	v_add_co_ci_u32_e64 v10, s2, s5, v10, s2
	global_load_b64 v[9:10], v[9:10], off
.LBB0_18:
	s_wait_alu 0xfffe
	s_or_b32 exec_lo, exec_lo, s7
	v_dual_mov_b32 v14, 0 :: v_dual_mov_b32 v15, 0
	v_mov_b32_e32 v16, 0
	s_and_saveexec_b32 s7, s3
	s_cbranch_execz .LBB0_20
; %bb.19:
	v_or_b32_e32 v13, 0x70, v33
	v_mov_b32_e32 v16, 0
	s_delay_alu instid0(VALU_DEP_2) | instskip(NEXT) | instid1(VALU_DEP_1)
	v_mul_lo_u32 v13, s8, v13
	v_add3_u32 v15, s6, v37, v13
	s_delay_alu instid0(VALU_DEP_1) | instskip(NEXT) | instid1(VALU_DEP_1)
	v_lshlrev_b64_e32 v[15:16], 3, v[15:16]
	v_add_co_u32 v15, s2, s4, v15
	s_wait_alu 0xf1ff
	s_delay_alu instid0(VALU_DEP_2)
	v_add_co_ci_u32_e64 v16, s2, s5, v16, s2
	global_load_b64 v[15:16], v[15:16], off
.LBB0_20:
	s_wait_alu 0xfffe
	s_or_b32 exec_lo, exec_lo, s7
	v_mov_b32_e32 v13, 0
	s_and_saveexec_b32 s7, s3
	s_cbranch_execz .LBB0_22
; %bb.21:
	v_or_b32_e32 v13, 0xa0, v33
	v_mov_b32_e32 v14, 0
	s_delay_alu instid0(VALU_DEP_2) | instskip(NEXT) | instid1(VALU_DEP_1)
	v_mul_lo_u32 v13, s8, v13
	v_add3_u32 v13, s6, v37, v13
	s_delay_alu instid0(VALU_DEP_1) | instskip(NEXT) | instid1(VALU_DEP_1)
	v_lshlrev_b64_e32 v[13:14], 3, v[13:14]
	v_add_co_u32 v13, s2, s4, v13
	s_wait_alu 0xf1ff
	s_delay_alu instid0(VALU_DEP_2)
	v_add_co_ci_u32_e64 v14, s2, s5, v14, s2
	global_load_b64 v[13:14], v[13:14], off
.LBB0_22:
	s_wait_alu 0xfffe
	s_or_b32 exec_lo, exec_lo, s7
	v_or_b32_e32 v28, 32, v33
	v_dual_mov_b32 v18, 0 :: v_dual_mov_b32 v19, 0
	v_mov_b32_e32 v20, 0
	s_and_saveexec_b32 s7, s3
	s_cbranch_execz .LBB0_24
; %bb.23:
	v_mul_lo_u32 v17, s8, v28
	v_mov_b32_e32 v20, 0
	s_delay_alu instid0(VALU_DEP_2) | instskip(NEXT) | instid1(VALU_DEP_1)
	v_add3_u32 v19, s6, v37, v17
	v_lshlrev_b64_e32 v[19:20], 3, v[19:20]
	s_delay_alu instid0(VALU_DEP_1) | instskip(SKIP_1) | instid1(VALU_DEP_2)
	v_add_co_u32 v19, s2, s4, v19
	s_wait_alu 0xf1ff
	v_add_co_ci_u32_e64 v20, s2, s5, v20, s2
	global_load_b64 v[19:20], v[19:20], off
.LBB0_24:
	s_wait_alu 0xfffe
	s_or_b32 exec_lo, exec_lo, s7
	v_mov_b32_e32 v17, 0
	s_and_saveexec_b32 s7, s3
	s_cbranch_execz .LBB0_26
; %bb.25:
	v_or_b32_e32 v17, 0x50, v33
	v_mov_b32_e32 v18, 0
	s_delay_alu instid0(VALU_DEP_2) | instskip(NEXT) | instid1(VALU_DEP_1)
	v_mul_lo_u32 v17, s8, v17
	v_add3_u32 v17, s6, v37, v17
	s_delay_alu instid0(VALU_DEP_1) | instskip(NEXT) | instid1(VALU_DEP_1)
	v_lshlrev_b64_e32 v[17:18], 3, v[17:18]
	v_add_co_u32 v17, s2, s4, v17
	s_wait_alu 0xf1ff
	s_delay_alu instid0(VALU_DEP_2)
	v_add_co_ci_u32_e64 v18, s2, s5, v18, s2
	global_load_b64 v[17:18], v[17:18], off
.LBB0_26:
	s_wait_alu 0xfffe
	s_or_b32 exec_lo, exec_lo, s7
	s_load_b64 s[10:11], s[0:1], 0x0
	v_dual_mov_b32 v22, 0 :: v_dual_mov_b32 v23, 0
	v_mov_b32_e32 v24, 0
	s_and_saveexec_b32 s7, s3
	s_cbranch_execz .LBB0_28
; %bb.27:
	v_or_b32_e32 v21, 0x80, v33
	v_mov_b32_e32 v24, 0
	s_delay_alu instid0(VALU_DEP_2) | instskip(NEXT) | instid1(VALU_DEP_1)
	v_mul_lo_u32 v21, s8, v21
	v_add3_u32 v23, s6, v37, v21
	s_delay_alu instid0(VALU_DEP_1) | instskip(NEXT) | instid1(VALU_DEP_1)
	v_lshlrev_b64_e32 v[23:24], 3, v[23:24]
	v_add_co_u32 v23, s2, s4, v23
	s_wait_alu 0xf1ff
	s_delay_alu instid0(VALU_DEP_2)
	v_add_co_ci_u32_e64 v24, s2, s5, v24, s2
	global_load_b64 v[23:24], v[23:24], off
.LBB0_28:
	s_wait_alu 0xfffe
	s_or_b32 exec_lo, exec_lo, s7
	v_mov_b32_e32 v21, 0
	s_and_saveexec_b32 s7, s3
	s_cbranch_execz .LBB0_30
; %bb.29:
	v_or_b32_e32 v21, 0xb0, v33
	v_mov_b32_e32 v22, 0
	s_delay_alu instid0(VALU_DEP_2) | instskip(NEXT) | instid1(VALU_DEP_1)
	v_mul_lo_u32 v21, s8, v21
	v_add3_u32 v21, s6, v37, v21
	s_delay_alu instid0(VALU_DEP_1) | instskip(NEXT) | instid1(VALU_DEP_1)
	v_lshlrev_b64_e32 v[21:22], 3, v[21:22]
	v_add_co_u32 v21, s2, s4, v21
	s_wait_alu 0xf1ff
	s_delay_alu instid0(VALU_DEP_2)
	v_add_co_ci_u32_e64 v22, s2, s5, v22, s2
	global_load_b64 v[21:22], v[21:22], off
.LBB0_30:
	s_wait_alu 0xfffe
	s_or_b32 exec_lo, exec_lo, s7
	s_wait_loadcnt 0x0
	v_dual_sub_f32 v7, v3, v7 :: v_dual_sub_f32 v8, v4, v8
	v_dual_sub_f32 v29, v1, v5 :: v_dual_sub_f32 v30, v11, v15
	v_sub_f32_e32 v5, v2, v6
	s_delay_alu instid0(VALU_DEP_3) | instskip(NEXT) | instid1(VALU_DEP_4)
	v_fma_f32 v6, v3, 2.0, -v7
	v_fma_f32 v15, v4, 2.0, -v8
	v_dual_sub_f32 v31, v12, v16 :: v_dual_sub_f32 v16, v9, v13
	s_delay_alu instid0(VALU_DEP_4) | instskip(SKIP_3) | instid1(VALU_DEP_4)
	v_fma_f32 v2, v2, 2.0, -v5
	v_fma_f32 v1, v1, 2.0, -v29
	v_dual_sub_f32 v13, v10, v14 :: v_dual_sub_f32 v4, v8, v29
	v_dual_add_f32 v3, v7, v5 :: v_dual_sub_f32 v24, v20, v24
	v_dual_sub_f32 v2, v15, v2 :: v_dual_sub_f32 v29, v17, v21
	v_dual_sub_f32 v14, v31, v16 :: v_dual_sub_f32 v21, v18, v22
	v_fma_f32 v11, v11, 2.0, -v30
	v_fma_f32 v9, v9, 2.0, -v16
	s_delay_alu instid0(VALU_DEP_4)
	v_sub_f32_e32 v22, v24, v29
	v_fma_f32 v12, v12, 2.0, -v31
	v_fma_f32 v10, v10, 2.0, -v13
	v_sub_f32_e32 v1, v6, v1
	v_add_f32_e32 v13, v30, v13
	v_fma_f32 v20, v20, 2.0, -v24
	v_fma_f32 v18, v18, 2.0, -v21
	v_dual_sub_f32 v9, v11, v9 :: v_dual_sub_f32 v10, v12, v10
	v_fma_f32 v5, v6, 2.0, -v1
	v_fma_f32 v6, v15, 2.0, -v2
	s_delay_alu instid0(VALU_DEP_4)
	v_dual_sub_f32 v16, v20, v18 :: v_dual_sub_f32 v23, v19, v23
	v_fma_f32 v15, v17, 2.0, -v29
	v_fma_f32 v17, v30, 2.0, -v13
	v_lshlrev_b32_e32 v30, 9, v33
	v_fma_f32 v18, v31, 2.0, -v14
	v_lshlrev_b32_e32 v31, 3, v27
	v_fma_f32 v7, v7, 2.0, -v3
	v_fma_f32 v8, v8, 2.0, -v4
	;; [unrolled: 1-line block ×3, first 2 shown]
	v_lshlrev_b32_e32 v27, 9, v26
	v_add3_u32 v29, 0, v30, v31
	v_dual_add_f32 v21, v23, v21 :: v_dual_lshlrev_b32 v30, 9, v28
	s_delay_alu instid0(VALU_DEP_4)
	v_sub_f32_e32 v15, v19, v15
	v_fma_f32 v11, v11, 2.0, -v9
	ds_store_2addr_b64 v29, v[5:6], v[7:8] offset1:16
	v_lshlrev_b32_e32 v8, 7, v25
	v_bfe_u32 v6, v0, 4, 2
	v_fma_f32 v12, v12, 2.0, -v10
	v_add3_u32 v27, 0, v27, v31
	ds_store_2addr_b64 v29, v[1:2], v[3:4] offset0:32 offset1:48
	v_fma_f32 v19, v19, 2.0, -v15
	v_lshlrev_b32_e32 v1, 4, v6
	v_fma_f32 v20, v20, 2.0, -v16
	v_fma_f32 v23, v23, 2.0, -v21
	;; [unrolled: 1-line block ×3, first 2 shown]
	v_add3_u32 v5, 0, v30, v31
	ds_store_2addr_b64 v27, v[11:12], v[17:18] offset1:16
	ds_store_2addr_b64 v27, v[9:10], v[13:14] offset0:32 offset1:48
	ds_store_2addr_b64 v5, v[19:20], v[23:24] offset1:16
	ds_store_2addr_b64 v5, v[15:16], v[21:22] offset0:32 offset1:48
	global_wb scope:SCOPE_SE
	s_wait_dscnt 0x0
	s_wait_kmcnt 0x0
	s_barrier_signal -1
	s_barrier_wait -1
	global_inv scope:SCOPE_SE
	global_load_b128 v[1:4], v1, s[10:11]
	v_and_b32_e32 v7, 0xf0, v0
	v_lshrrev_b32_e32 v10, 2, v26
	v_lshrrev_b32_e32 v12, 2, v25
	v_mad_i32_i24 v13, 0xfffffe80, v26, v27
	v_lshrrev_b32_e32 v9, 6, v0
	v_lshlrev_b32_e32 v7, 3, v7
	v_lshrrev_b32_e32 v11, 2, v28
	v_cmp_gt_u32_e64 s2, 0xc0, v0
	s_delay_alu instid0(VALU_DEP_3)
	v_add3_u32 v21, 0, v7, v31
	ds_load_2addr_stride64_b64 v[23:26], v21 offset0:28 offset1:32
	ds_load_2addr_stride64_b64 v[40:43], v21 offset0:36 offset1:40
	s_wait_loadcnt_dscnt 0x0
	v_mul_f32_e32 v44, v4, v41
	v_mul_f32_e32 v32, v4, v25
	v_add3_u32 v22, 0, v8, v31
	v_mul_u32_u24_e32 v8, 12, v9
	v_mul_u32_u24_e32 v9, 12, v10
	v_mul_u32_u24_e32 v10, 12, v11
	v_mul_u32_u24_e32 v11, 12, v12
	v_mad_i32_i24 v12, 0xfffffe80, v28, v5
	v_or_b32_e32 v14, v8, v6
	v_or_b32_e32 v9, v9, v6
	;; [unrolled: 1-line block ×4, first 2 shown]
	ds_load_2addr_stride64_b64 v[5:8], v21 offset1:16
	ds_load_2addr_stride64_b64 v[27:30], v21 offset0:20 offset1:24
	v_dual_mul_f32 v48, v4, v43 :: v_dual_lshlrev_b32 v15, 7, v14
	v_lshlrev_b32_e32 v16, 7, v9
	v_dual_mul_f32 v50, v2, v24 :: v_dual_lshlrev_b32 v19, 7, v10
	v_lshlrev_b32_e32 v20, 7, v11
	ds_load_b64 v[11:12], v12
	ds_load_b64 v[17:18], v13
	;; [unrolled: 1-line block ×3, first 2 shown]
	ds_load_b64 v[9:10], v21 offset:22528
	v_add3_u32 v15, 0, v15, v31
	v_add3_u32 v34, 0, v19, v31
	v_mul_f32_e32 v45, v4, v40
	v_add3_u32 v35, 0, v20, v31
	v_fmac_f32_e32 v44, v3, v40
	v_fmac_f32_e32 v50, v1, v23
	global_wb scope:SCOPE_SE
	s_wait_dscnt 0x0
	s_barrier_signal -1
	s_barrier_wait -1
	global_inv scope:SCOPE_SE
	v_mul_f32_e32 v19, v2, v8
	v_mul_f32_e32 v46, v2, v30
	v_add3_u32 v16, 0, v16, v31
	v_dual_mul_f32 v31, v4, v26 :: v_dual_mul_f32 v36, v2, v28
	v_mul_f32_e32 v20, v2, v7
	v_mul_f32_e32 v38, v2, v27
	;; [unrolled: 1-line block ×3, first 2 shown]
	s_delay_alu instid0(VALU_DEP_4)
	v_dual_mul_f32 v49, v4, v42 :: v_dual_fmac_f32 v36, v1, v27
	v_mul_f32_e32 v2, v2, v23
	v_dual_mul_f32 v51, v10, v4 :: v_dual_fmac_f32 v46, v1, v29
	v_mul_f32_e32 v4, v9, v4
	v_fmac_f32_e32 v19, v1, v7
	v_fmac_f32_e32 v31, v3, v25
	v_fma_f32 v7, v1, v8, -v20
	v_fma_f32 v8, v3, v26, -v32
	;; [unrolled: 1-line block ×5, first 2 shown]
	v_dual_fmac_f32 v48, v3, v42 :: v_dual_fmac_f32 v51, v9, v3
	v_fma_f32 v27, v3, v43, -v49
	v_fma_f32 v1, v1, v24, -v2
	;; [unrolled: 1-line block ×3, first 2 shown]
	v_add_f32_e32 v4, v19, v31
	v_dual_sub_f32 v23, v19, v31 :: v_dual_add_f32 v24, v36, v44
	v_dual_add_f32 v2, v5, v19 :: v_dual_sub_f32 v9, v7, v8
	v_dual_add_f32 v10, v6, v7 :: v_dual_add_f32 v7, v7, v8
	v_dual_add_f32 v19, v17, v36 :: v_dual_sub_f32 v28, v20, v25
	v_dual_add_f32 v29, v18, v20 :: v_dual_add_f32 v20, v20, v25
	;; [unrolled: 2-line block ×3, first 2 shown]
	v_dual_sub_f32 v45, v1, v3 :: v_dual_add_f32 v36, v46, v48
	v_add_f32_e32 v47, v1, v3
	v_sub_f32_e32 v38, v26, v27
	v_dual_add_f32 v40, v12, v26 :: v_dual_sub_f32 v49, v50, v51
	v_sub_f32_e32 v42, v46, v48
	v_fma_f32 v5, -0.5, v4, v5
	v_add_f32_e32 v26, v26, v27
	v_fma_f32 v17, -0.5, v24, v17
	v_add_f32_e32 v46, v14, v1
	;; [unrolled: 2-line block ×3, first 2 shown]
	v_add_f32_e32 v19, v30, v48
	v_fma_f32 v11, -0.5, v36, v11
	v_fmac_f32_e32 v18, -0.5, v20
	v_add_f32_e32 v20, v40, v27
	v_fma_f32 v13, -0.5, v43, v13
	v_fmac_f32_e32 v14, -0.5, v47
	v_fmamk_f32 v40, v28, 0xbf5db3d7, v17
	v_dual_fmac_f32 v17, 0x3f5db3d7, v28 :: v_dual_add_f32 v30, v46, v3
	v_dual_fmamk_f32 v3, v9, 0xbf5db3d7, v5 :: v_dual_fmac_f32 v12, -0.5, v26
	v_add_f32_e32 v1, v2, v31
	v_dual_add_f32 v2, v10, v8 :: v_dual_fmac_f32 v5, 0x3f5db3d7, v9
	v_add_f32_e32 v8, v29, v25
	v_dual_add_f32 v29, v41, v51 :: v_dual_fmamk_f32 v4, v23, 0x3f5db3d7, v6
	v_dual_fmac_f32 v6, 0xbf5db3d7, v23 :: v_dual_fmamk_f32 v9, v38, 0xbf5db3d7, v11
	v_fmamk_f32 v41, v32, 0x3f5db3d7, v18
	v_fmac_f32_e32 v18, 0xbf5db3d7, v32
	v_fmac_f32_e32 v11, 0x3f5db3d7, v38
	v_fmamk_f32 v31, v45, 0xbf5db3d7, v13
	v_dual_fmac_f32 v13, 0x3f5db3d7, v45 :: v_dual_fmamk_f32 v10, v42, 0x3f5db3d7, v12
	v_fmac_f32_e32 v12, 0xbf5db3d7, v42
	v_fmamk_f32 v32, v49, 0x3f5db3d7, v14
	v_fmac_f32_e32 v14, 0xbf5db3d7, v49
	ds_store_2addr_stride64_b64 v15, v[1:2], v[3:4] offset1:1
	ds_store_b64 v15, v[5:6] offset:1024
	ds_store_2addr_stride64_b64 v16, v[7:8], v[40:41] offset1:1
	ds_store_b64 v16, v[17:18] offset:1024
	;; [unrolled: 2-line block ×4, first 2 shown]
	global_wb scope:SCOPE_SE
	s_wait_dscnt 0x0
	s_barrier_signal -1
	s_barrier_wait -1
	global_inv scope:SCOPE_SE
                                        ; implicit-def: $vgpr26
                                        ; implicit-def: $vgpr43
	s_and_saveexec_b32 s3, s2
	s_cbranch_execz .LBB0_32
; %bb.31:
	ds_load_2addr_stride64_b64 v[1:4], v21 offset1:3
	ds_load_2addr_stride64_b64 v[5:8], v21 offset0:6 offset1:9
	ds_load_2addr_stride64_b64 v[17:20], v21 offset0:15 offset1:18
	;; [unrolled: 1-line block ×6, first 2 shown]
	ds_load_b64 v[40:41], v22
	ds_load_b64 v[42:43], v21 offset:23040
.LBB0_32:
	s_wait_alu 0xfffe
	s_or_b32 exec_lo, exec_lo, s3
	v_cmp_gt_u32_e64 s3, 0xc0, v0
	v_cmp_lt_u32_e64 s2, 0xbf, v0
	v_cndmask_b32_e64 v22, 0, 1, vcc_lo
	s_wait_alu 0xf1ff
	s_delay_alu instid0(VALU_DEP_3) | instskip(NEXT) | instid1(VALU_DEP_3)
	v_cndmask_b32_e64 v21, 0, 1, s3
	s_or_b32 vcc_lo, s2, s9
	s_mov_b32 s2, exec_lo
	s_wait_alu 0xfffe
	s_delay_alu instid0(VALU_DEP_1) | instskip(NEXT) | instid1(VALU_DEP_1)
	v_cndmask_b32_e32 v21, v22, v21, vcc_lo
	v_and_b32_e32 v21, 1, v21
	s_delay_alu instid0(VALU_DEP_1)
	v_cmpx_eq_u32_e32 1, v21
	s_cbranch_execz .LBB0_34
; %bb.33:
	v_mul_lo_u16 v21, v33, 22
	s_load_b64 s[0:1], s[0:1], 0x8
	s_delay_alu instid0(VALU_DEP_1) | instskip(NEXT) | instid1(VALU_DEP_1)
	v_lshrrev_b16 v21, 8, v21
	v_mul_lo_u16 v21, v21, 12
	s_delay_alu instid0(VALU_DEP_1) | instskip(NEXT) | instid1(VALU_DEP_1)
	v_sub_nc_u16 v21, v33, v21
	v_and_b32_e32 v38, 0xff, v21
	s_delay_alu instid0(VALU_DEP_1) | instskip(NEXT) | instid1(VALU_DEP_1)
	v_mul_u32_u24_e32 v21, 15, v38
	v_lshlrev_b32_e32 v64, 3, v21
	s_clause 0x6
	global_load_b128 v[44:47], v64, s[10:11] offset:128
	global_load_b128 v[48:51], v64, s[10:11] offset:96
	;; [unrolled: 1-line block ×7, first 2 shown]
	s_wait_loadcnt_dscnt 0x604
	v_dual_mul_f32 v87, v30, v45 :: v_dual_mul_f32 v86, v32, v47
	s_delay_alu instid0(VALU_DEP_1)
	v_fmac_f32_e32 v87, v29, v44
	v_add_nc_u32_e32 v65, 0xb4, v38
	v_add_nc_u32_e32 v67, 0xa8, v38
	;; [unrolled: 1-line block ×3, first 2 shown]
	v_or_b32_e32 v70, 0x90, v38
	v_add_nc_u32_e32 v71, 0x84, v38
	v_mul_lo_u32 v66, v39, v65
	global_load_b64 v[64:65], v64, s[10:11] offset:176
	v_mul_lo_u32 v67, v39, v67
	v_mul_lo_u32 v73, v39, v69
	;; [unrolled: 1-line block ×4, first 2 shown]
	v_add_nc_u32_e32 v83, 0x78, v38
	v_fmac_f32_e32 v86, v31, v46
	v_and_b32_e32 v68, 0xff, v66
	v_lshrrev_b32_e32 v66, 5, v66
	v_and_b32_e32 v74, 0xff, v67
	v_lshrrev_b32_e32 v75, 5, v67
	v_and_b32_e32 v77, 0xff, v76
	v_lshlrev_b32_e32 v68, 3, v68
	v_and_b32_e32 v72, 0x7f8, v66
	v_lshlrev_b32_e32 v70, 3, v74
	v_and_b32_e32 v74, 0xff, v73
	s_wait_kmcnt 0x0
	s_clause 0x1
	global_load_b64 v[66:67], v68, s[0:1]
	global_load_b64 v[68:69], v72, s[0:1] offset:2048
	v_and_b32_e32 v72, 0x7f8, v75
	v_lshrrev_b32_e32 v75, 5, v73
	v_lshrrev_b32_e32 v80, 5, v76
	v_lshlrev_b32_e32 v74, 3, v74
	v_and_b32_e32 v81, 0xff, v78
	v_lshlrev_b32_e32 v82, 3, v77
	v_and_b32_e32 v79, 0x7f8, v75
	v_and_b32_e32 v80, 0x7f8, v80
	v_lshrrev_b32_e32 v84, 5, v78
	s_clause 0x3
	global_load_b64 v[70:71], v70, s[0:1]
	global_load_b64 v[72:73], v72, s[0:1] offset:2048
	global_load_b64 v[74:75], v74, s[0:1]
	global_load_b64 v[76:77], v79, s[0:1] offset:2048
	s_wait_loadcnt 0x8
	v_dual_mul_f32 v90, v8, v22 :: v_dual_lshlrev_b32 v85, 3, v81
	s_clause 0x1
	global_load_b64 v[78:79], v82, s[0:1]
	global_load_b64 v[80:81], v80, s[0:1] offset:2048
	v_dual_mul_f32 v82, v31, v47 :: v_dual_mul_f32 v47, v29, v45
	v_dual_fmac_f32 v90, v7, v21 :: v_dual_and_b32 v45, 0x7f8, v84
	s_delay_alu instid0(VALU_DEP_2) | instskip(NEXT) | instid1(VALU_DEP_3)
	v_fma_f32 v82, v32, v46, -v82
	v_fma_f32 v84, v30, v44, -v47
	s_clause 0x1
	global_load_b64 v[29:30], v85, s[0:1]
	global_load_b64 v[31:32], v45, s[0:1] offset:2048
	v_mul_f32_e32 v85, v18, v49
	v_mul_lo_u32 v44, v39, v83
	v_mul_f32_e32 v83, v20, v51
	v_mul_f32_e32 v49, v17, v49
	;; [unrolled: 1-line block ×3, first 2 shown]
	v_fmac_f32_e32 v85, v17, v48
	v_add_nc_u32_e32 v17, 0x6c, v38
	v_fmac_f32_e32 v83, v19, v50
	v_fma_f32 v48, v18, v48, -v49
	v_or_b32_e32 v18, 0x60, v38
	v_add_nc_u32_e32 v19, 0x54, v38
	v_mul_lo_u32 v17, v39, v17
	v_and_b32_e32 v45, 0xff, v44
	v_fma_f32 v50, v20, v50, -v51
	v_mul_lo_u32 v18, v39, v18
	s_wait_dscnt 0x2
	v_mul_f32_e32 v49, v28, v55
	v_mul_f32_e32 v51, v27, v55
	;; [unrolled: 1-line block ×3, first 2 shown]
	v_lshrrev_b32_e32 v44, 5, v44
	v_and_b32_e32 v20, 0xff, v17
	v_lshrrev_b32_e32 v17, 5, v17
	v_lshlrev_b32_e32 v45, 3, v45
	v_fmac_f32_e32 v49, v27, v54
	v_fmac_f32_e32 v55, v25, v52
	v_lshlrev_b32_e32 v20, 3, v20
	v_and_b32_e32 v27, 0x7f8, v17
	v_dual_mul_f32 v17, v11, v59 :: v_dual_and_b32 v46, 0x7f8, v44
	s_clause 0x1
	global_load_b64 v[44:45], v45, s[0:1]
	global_load_b64 v[46:47], v46, s[0:1] offset:2048
	v_fma_f32 v51, v28, v54, -v51
	v_fma_f32 v88, v12, v58, -v17
	v_mul_f32_e32 v59, v12, v59
	s_delay_alu instid0(VALU_DEP_3) | instskip(NEXT) | instid1(VALU_DEP_2)
	v_sub_f32_e32 v51, v50, v51
	v_dual_fmac_f32 v59, v11, v58 :: v_dual_mul_f32 v58, v14, v61
	s_delay_alu instid0(VALU_DEP_1) | instskip(NEXT) | instid1(VALU_DEP_1)
	v_fmac_f32_e32 v58, v13, v60
	v_sub_f32_e32 v58, v90, v58
	s_wait_loadcnt_dscnt 0xc00
	v_mul_f32_e32 v92, v43, v65
	v_mul_lo_u32 v19, v39, v19
	v_mul_f32_e32 v53, v25, v53
	v_and_b32_e32 v25, 0xff, v18
	v_lshrrev_b32_e32 v18, 5, v18
	v_fmac_f32_e32 v92, v42, v64
	s_delay_alu instid0(VALU_DEP_4) | instskip(SKIP_4) | instid1(VALU_DEP_4)
	v_fma_f32 v52, v26, v52, -v53
	v_dual_mul_f32 v53, v10, v57 :: v_dual_and_b32 v26, 0xff, v19
	v_lshrrev_b32_e32 v19, 5, v19
	v_and_b32_e32 v28, 0x7f8, v18
	v_lshlrev_b32_e32 v25, 3, v25
	v_dual_mul_f32 v57, v9, v57 :: v_dual_lshlrev_b32 v26, 3, v26
	s_delay_alu instid0(VALU_DEP_4)
	v_dual_fmac_f32 v53, v9, v56 :: v_dual_and_b32 v54, 0x7f8, v19
	s_clause 0x1
	global_load_b64 v[17:18], v20, s[0:1]
	global_load_b64 v[19:20], v27, s[0:1] offset:2048
	v_fma_f32 v56, v10, v56, -v57
	s_clause 0x3
	global_load_b64 v[9:10], v25, s[0:1]
	global_load_b64 v[11:12], v28, s[0:1] offset:2048
	global_load_b64 v[25:26], v26, s[0:1]
	global_load_b64 v[27:28], v54, s[0:1] offset:2048
	v_mul_f32_e32 v57, v13, v61
	v_mul_f32_e32 v61, v15, v63
	v_dual_mul_f32 v54, v16, v63 :: v_dual_add_nc_u32 v13, 0x48, v38
	v_mul_f32_e32 v63, v41, v24
	s_delay_alu instid0(VALU_DEP_4) | instskip(NEXT) | instid1(VALU_DEP_4)
	v_fma_f32 v57, v14, v60, -v57
	v_fma_f32 v60, v16, v62, -v61
	v_add_nc_u32_e32 v16, 36, v38
	v_add_nc_u32_e32 v14, 60, v38
	v_mul_f32_e32 v24, v40, v24
	v_fmac_f32_e32 v54, v15, v62
	v_add_nc_u32_e32 v62, 12, v38
	v_mul_lo_u32 v16, v39, v16
	v_mul_lo_u32 v13, v39, v13
	v_mul_lo_u32 v14, v39, v14
	v_add_nc_u32_e32 v61, 24, v38
	v_fmac_f32_e32 v63, v40, v23
	v_fma_f32 v89, v41, v23, -v24
	v_mul_lo_u32 v40, v39, v62
	v_or_b32_e32 v15, 48, v38
	v_dual_mul_f32 v23, v7, v22 :: v_dual_and_b32 v24, 0xff, v16
	v_mul_lo_u32 v22, v39, v61
	v_dual_mul_f32 v62, v6, v36 :: v_dual_and_b32 v7, 0xff, v13
	v_lshrrev_b32_e32 v13, 5, v13
	s_delay_alu instid0(VALU_DEP_4)
	v_lshlrev_b32_e32 v24, 3, v24
	v_fma_f32 v61, v8, v21, -v23
	v_dual_mul_f32 v8, v5, v36 :: v_dual_and_b32 v21, 0xff, v14
	v_mul_lo_u32 v15, v39, v15
	v_lshrrev_b32_e32 v14, 5, v14
	v_fmac_f32_e32 v62, v5, v35
	s_delay_alu instid0(VALU_DEP_4)
	v_fma_f32 v91, v6, v35, -v8
	v_dual_mul_f32 v5, v42, v65 :: v_dual_lshlrev_b32 v6, 3, v7
	v_and_b32_e32 v7, 0x7f8, v13
	v_and_b32_e32 v41, 0xff, v40
	v_lshrrev_b32_e32 v42, 5, v40
	s_wait_loadcnt 0xa
	v_mul_f32_e32 v40, v79, v81
	v_lshlrev_b32_e32 v13, 3, v21
	v_mul_lo_u32 v39, v39, v38
	v_mul_f32_e32 v21, v3, v34
	v_mul_f32_e32 v65, v4, v34
	v_and_b32_e32 v14, 0x7f8, v14
	v_and_b32_e32 v23, 0xff, v15
	v_fma_f32 v64, v43, v64, -v5
	v_fma_f32 v93, v4, v33, -v21
	v_mul_f32_e32 v21, v67, v69
	v_mul_f32_e32 v69, v66, v69
	s_clause 0x1
	global_load_b64 v[5:6], v6, s[0:1]
	global_load_b64 v[7:8], v7, s[0:1] offset:2048
	v_fmac_f32_e32 v65, v3, v33
	v_lshrrev_b32_e32 v33, 5, v16
	s_clause 0x1
	global_load_b64 v[3:4], v13, s[0:1]
	global_load_b64 v[13:14], v14, s[0:1] offset:2048
	v_fmac_f32_e32 v69, v67, v68
	v_mul_f32_e32 v16, v71, v73
	v_dual_mul_f32 v67, v70, v73 :: v_dual_sub_f32 v64, v56, v64
	v_lshrrev_b32_e32 v15, 5, v15
	v_fma_f32 v66, v66, v68, -v21
	s_delay_alu instid0(VALU_DEP_4) | instskip(NEXT) | instid1(VALU_DEP_4)
	v_fma_f32 v68, v70, v72, -v16
	v_dual_fmac_f32 v67, v71, v72 :: v_dual_mul_f32 v72, v78, v81
	v_dual_sub_f32 v52, v48, v52 :: v_dual_lshlrev_b32 v21, 3, v23
	v_and_b32_e32 v23, 0x7f8, v15
	v_and_b32_e32 v35, 0xff, v22
	v_lshrrev_b32_e32 v36, 5, v22
	s_clause 0x1
	global_load_b64 v[15:16], v21, s[0:1]
	global_load_b64 v[21:22], v23, s[0:1] offset:2048
	v_mul_f32_e32 v23, v75, v77
	v_and_b32_e32 v33, 0x7f8, v33
	v_mul_f32_e32 v70, v74, v77
	v_dual_fmac_f32 v72, v79, v80 :: v_dual_lshlrev_b32 v73, 3, v41
	s_delay_alu instid0(VALU_DEP_4) | instskip(SKIP_1) | instid1(VALU_DEP_4)
	v_fma_f32 v71, v74, v76, -v23
	v_fma_f32 v74, v78, v80, -v40
	v_fmac_f32_e32 v70, v75, v76
	s_wait_loadcnt 0xe
	v_mul_f32_e32 v75, v30, v32
	v_mul_f32_e32 v76, v29, v32
	v_sub_f32_e32 v57, v61, v57
	v_dual_sub_f32 v78, v53, v92 :: v_dual_lshlrev_b32 v35, 3, v35
	v_and_b32_e32 v43, 0x7f8, v36
	v_and_b32_e32 v32, 0x7f8, v42
	;; [unrolled: 1-line block ×3, first 2 shown]
	v_fma_f32 v75, v29, v31, -v75
	v_fmac_f32_e32 v76, v30, v31
	v_fma_f32 v53, v53, 2.0, -v78
	v_sub_f32_e32 v78, v57, v78
	v_dual_sub_f32 v79, v65, v87 :: v_dual_lshlrev_b32 v42, 3, v42
	v_lshrrev_b32_e32 v39, 5, v39
	v_fma_f32 v48, v48, 2.0, -v52
	v_fma_f32 v87, v90, 2.0, -v58
	;; [unrolled: 1-line block ×4, first 2 shown]
	v_add_f32_e32 v52, v79, v52
	s_wait_loadcnt 0xa
	v_mul_f32_e32 v81, v17, v20
	v_mul_f32_e32 v80, v18, v20
	v_sub_f32_e32 v20, v1, v59
	v_sub_f32_e32 v59, v89, v60
	s_wait_loadcnt 0x8
	v_mul_f32_e32 v60, v10, v12
	v_dual_fmac_f32 v81, v18, v19 :: v_dual_mul_f32 v18, v9, v12
	s_clause 0x1
	global_load_b64 v[23:24], v24, s[0:1]
	global_load_b64 v[33:34], v33, s[0:1] offset:2048
	s_wait_loadcnt 0x8
	v_mul_f32_e32 v12, v26, v28
	s_clause 0x1
	global_load_b64 v[35:36], v35, s[0:1]
	global_load_b64 v[40:41], v43, s[0:1] offset:2048
	v_mul_f32_e32 v28, v25, v28
	s_clause 0x1
	global_load_b64 v[29:30], v73, s[0:1]
	global_load_b64 v[31:32], v32, s[0:1] offset:2048
	v_mul_f32_e32 v43, v45, v47
	v_mul_f32_e32 v47, v44, v47
	v_fma_f32 v80, v17, v19, -v80
	v_fma_f32 v1, v1, 2.0, -v20
	v_fmac_f32_e32 v18, v10, v11
	v_fma_f32 v73, v44, v46, -v43
	v_dual_fmac_f32 v47, v45, v46 :: v_dual_sub_f32 v46, v83, v49
	v_sub_f32_e32 v49, v62, v86
	v_fmac_f32_e32 v28, v26, v27
	s_delay_alu instid0(VALU_DEP_2)
	v_fma_f32 v62, v62, 2.0, -v49
	v_and_b32_e32 v39, 0x7f8, v39
	s_clause 0x1
	global_load_b64 v[42:43], v42, s[0:1]
	global_load_b64 v[44:45], v39, s[0:1] offset:2048
	v_mul_u32_u24_e32 v39, 0x156, v0
	s_delay_alu instid0(VALU_DEP_1) | instskip(NEXT) | instid1(VALU_DEP_1)
	v_lshrrev_b32_e32 v39, 16, v39
	v_mul_lo_u16 v39, 0xc0, v39
	s_delay_alu instid0(VALU_DEP_1) | instskip(NEXT) | instid1(VALU_DEP_1)
	v_sub_nc_u16 v39, v0, v39
	v_and_b32_e32 v39, 0xffff, v39
	s_delay_alu instid0(VALU_DEP_1) | instskip(SKIP_1) | instid1(VALU_DEP_2)
	v_sub_nc_u32_e32 v0, v0, v39
	v_sub_f32_e32 v39, v91, v82
	v_dual_sub_f32 v0, v2, v88 :: v_dual_add_nc_u32 v77, v0, v38
	v_sub_f32_e32 v38, v63, v54
	s_delay_alu instid0(VALU_DEP_3) | instskip(SKIP_1) | instid1(VALU_DEP_3)
	v_dual_sub_f32 v19, v39, v46 :: v_dual_sub_f32 v54, v93, v84
	v_fma_f32 v46, v83, 2.0, -v46
	v_dual_add_f32 v84, v58, v64 :: v_dual_sub_f32 v17, v0, v38
	v_fma_f32 v38, v63, 2.0, -v38
	s_delay_alu instid0(VALU_DEP_4)
	v_fma_f32 v86, v93, 2.0, -v54
	v_fma_f32 v2, v2, 2.0, -v0
	v_sub_f32_e32 v26, v62, v46
	v_fmamk_f32 v10, v19, 0x3f3504f3, v17
	v_sub_f32_e32 v38, v1, v38
	v_add_f32_e32 v82, v49, v51
	v_fma_f32 v50, v50, 2.0, -v51
	v_sub_f32_e32 v55, v85, v55
	v_fma_f32 v51, v9, v11, -v60
	v_fma_f32 v60, v25, v27, -v12
	v_fmac_f32_e32 v10, 0xbf3504f3, v82
	v_fma_f32 v61, v61, 2.0, -v57
	v_sub_f32_e32 v83, v54, v55
	v_fma_f32 v55, v85, 2.0, -v55
	v_fma_f32 v85, v89, 2.0, -v59
	v_dual_sub_f32 v27, v86, v48 :: v_dual_sub_f32 v46, v87, v53
	v_sub_f32_e32 v53, v61, v56
	s_delay_alu instid0(VALU_DEP_4) | instskip(SKIP_3) | instid1(VALU_DEP_4)
	v_sub_f32_e32 v48, v65, v55
	v_fma_f32 v56, v58, 2.0, -v84
	v_add_f32_e32 v59, v20, v59
	v_fma_f32 v55, v57, 2.0, -v78
	v_dual_fmamk_f32 v9, v78, 0x3f3504f3, v83 :: v_dual_add_f32 v64, v48, v53
	v_sub_f32_e32 v25, v2, v85
	s_delay_alu instid0(VALU_DEP_4)
	v_fmamk_f32 v12, v82, 0x3f3504f3, v59
	v_fma_f32 v57, v79, 2.0, -v52
	v_fma_f32 v63, v91, 2.0, -v39
	;; [unrolled: 1-line block ×3, first 2 shown]
	v_sub_f32_e32 v58, v25, v26
	v_fma_f32 v26, v62, 2.0, -v26
	v_fmamk_f32 v11, v84, 0x3f3504f3, v52
	v_fma_f32 v62, v86, 2.0, -v27
	v_fmac_f32_e32 v9, 0xbf3504f3, v84
	v_fmamk_f32 v84, v56, 0xbf3504f3, v57
	v_fma_f32 v39, v39, 2.0, -v19
	v_dual_fmac_f32 v12, 0x3f3504f3, v19 :: v_dual_sub_f32 v19, v27, v46
	v_fma_f32 v49, v49, 2.0, -v82
	s_delay_alu instid0(VALU_DEP_4) | instskip(SKIP_1) | instid1(VALU_DEP_4)
	v_fmac_f32_e32 v84, 0x3f3504f3, v55
	v_sub_f32_e32 v50, v63, v50
	v_dual_fmac_f32 v11, 0x3f3504f3, v78 :: v_dual_fmamk_f32 v86, v19, 0x3f3504f3, v58
	v_fma_f32 v54, v54, 2.0, -v83
	v_fma_f32 v46, v87, 2.0, -v46
	s_delay_alu instid0(VALU_DEP_4)
	v_add_f32_e32 v78, v38, v50
	v_fma_f32 v50, v63, 2.0, -v50
	v_fmac_f32_e32 v86, 0xbf3504f3, v64
	v_fmamk_f32 v82, v55, 0xbf3504f3, v54
	v_fma_f32 v0, v0, 2.0, -v17
	v_fma_f32 v55, v25, 2.0, -v58
	;; [unrolled: 1-line block ×4, first 2 shown]
	v_fmac_f32_e32 v82, 0xbf3504f3, v56
	v_fmamk_f32 v79, v39, 0xbf3504f3, v0
	v_fma_f32 v20, v20, 2.0, -v59
	s_delay_alu instid0(VALU_DEP_2) | instskip(NEXT) | instid1(VALU_DEP_2)
	v_fmac_f32_e32 v79, 0xbf3504f3, v49
	v_fmamk_f32 v85, v49, 0xbf3504f3, v20
	s_delay_alu instid0(VALU_DEP_2) | instskip(SKIP_3) | instid1(VALU_DEP_4)
	v_fmamk_f32 v56, v82, 0x3ec3ef15, v79
	v_fma_f32 v53, v61, 2.0, -v53
	v_sub_f32_e32 v49, v2, v50
	v_sub_f32_e32 v50, v1, v26
	v_fmac_f32_e32 v56, 0xbf6c835e, v84
	s_delay_alu instid0(VALU_DEP_4) | instskip(SKIP_3) | instid1(VALU_DEP_4)
	v_sub_f32_e32 v26, v62, v53
	v_fma_f32 v53, v17, 2.0, -v10
	v_fma_f32 v17, v83, 2.0, -v9
	;; [unrolled: 1-line block ×3, first 2 shown]
	v_add_f32_e32 v83, v50, v26
	v_fmamk_f32 v61, v9, 0x3f6c835e, v10
	s_delay_alu instid0(VALU_DEP_4) | instskip(SKIP_4) | instid1(VALU_DEP_4)
	v_fmamk_f32 v88, v17, 0xbec3ef15, v53
	v_fma_f32 v25, v27, 2.0, -v19
	v_fma_f32 v27, v48, 2.0, -v64
	;; [unrolled: 1-line block ×3, first 2 shown]
	v_dual_mul_f32 v26, v83, v72 :: v_dual_fmac_f32 v61, 0xbec3ef15, v11
	v_fmamk_f32 v90, v25, 0xbf3504f3, v55
	v_fma_f32 v48, v38, 2.0, -v78
	v_fma_f32 v38, v54, 2.0, -v82
	;; [unrolled: 1-line block ×4, first 2 shown]
	v_fmac_f32_e32 v90, 0xbf3504f3, v27
	v_fma_f32 v92, v0, 2.0, -v79
	v_dual_mul_f32 v0, v61, v69 :: v_dual_fmac_f32 v85, 0x3f3504f3, v39
	v_sub_f32_e32 v39, v63, v46
	v_fma_f32 v46, v52, 2.0, -v11
	v_fma_f32 v52, v59, 2.0, -v12
	v_fmamk_f32 v91, v27, 0xbf3504f3, v48
	s_delay_alu instid0(VALU_DEP_4)
	v_fma_f32 v1, v63, 2.0, -v39
	v_fmamk_f32 v63, v38, 0xbf6c835e, v92
	v_fmamk_f32 v65, v11, 0x3f6c835e, v12
	;; [unrolled: 1-line block ×3, first 2 shown]
	v_fmac_f32_e32 v88, 0xbf6c835e, v46
	v_fmac_f32_e32 v91, 0x3f3504f3, v25
	v_fmac_f32_e32 v63, 0xbec3ef15, v54
	v_fmamk_f32 v59, v84, 0x3ec3ef15, v85
	v_fmac_f32_e32 v89, 0x3f6c835e, v17
	s_delay_alu instid0(VALU_DEP_3) | instskip(NEXT) | instid1(VALU_DEP_3)
	v_dual_mul_f32 v25, v90, v47 :: v_dual_mul_f32 v46, v63, v81
	v_fmac_f32_e32 v59, 0x3f6c835e, v82
	v_dual_fmamk_f32 v87, v64, 0x3f3504f3, v78 :: v_dual_sub_f32 v64, v49, v39
	v_mul_f32_e32 v39, v91, v47
	s_delay_alu instid0(VALU_DEP_2) | instskip(NEXT) | instid1(VALU_DEP_3)
	v_fmac_f32_e32 v87, 0x3f3504f3, v19
	v_dual_mul_f32 v11, v64, v72 :: v_dual_sub_f32 v72, v62, v1
	v_fmac_f32_e32 v65, 0x3ec3ef15, v9
	s_delay_alu instid0(VALU_DEP_1) | instskip(SKIP_3) | instid1(VALU_DEP_3)
	v_dual_mul_f32 v9, v86, v67 :: v_dual_fmac_f32 v0, v65, v66
	v_fma_f32 v57, v20, 2.0, -v85
	v_dual_mul_f32 v19, v65, v69 :: v_dual_mul_f32 v20, v87, v67
	v_sub_f32_e32 v69, v93, v2
	v_dual_fmamk_f32 v67, v54, 0xbf6c835e, v57 :: v_dual_mul_f32 v54, v72, v18
	v_fma_f32 v2, v10, 2.0, -v61
	s_delay_alu instid0(VALU_DEP_4) | instskip(SKIP_1) | instid1(VALU_DEP_4)
	v_fma_f32 v10, v86, v68, -v20
	v_mul_f32_e32 v20, v59, v70
	v_fmac_f32_e32 v67, 0x3ec3ef15, v38
	s_delay_alu instid0(VALU_DEP_4) | instskip(SKIP_4) | instid1(VALU_DEP_4)
	v_dual_mul_f32 v27, v69, v18 :: v_dual_mul_f32 v38, v2, v28
	v_fma_f32 v82, v12, 2.0, -v65
	v_fma_f32 v12, v64, v74, -v26
	v_mul_f32_e32 v26, v89, v76
	v_fma_f32 v18, v56, v71, -v20
	v_dual_fmac_f32 v27, v72, v51 :: v_dual_fmac_f32 v38, v82, v60
	v_fma_f32 v1, v61, v66, -v19
	v_dual_mul_f32 v61, v82, v28 :: v_dual_mul_f32 v28, v67, v81
	v_fma_f32 v20, v88, v75, -v26
	v_fma_f32 v26, v90, v73, -v39
	v_fmac_f32_e32 v46, v67, v80
	s_delay_alu instid0(VALU_DEP_4)
	v_fma_f32 v39, v2, v60, -v61
	v_fma_f32 v47, v63, v80, -v28
	;; [unrolled: 1-line block ×3, first 2 shown]
	s_wait_loadcnt 0xc
	v_mul_f32_e32 v2, v5, v8
	v_mul_f32_e32 v8, v6, v8
	v_fma_f32 v51, v58, 2.0, -v86
	s_wait_loadcnt 0xa
	v_mul_f32_e32 v58, v3, v14
	v_fma_f32 v54, v78, 2.0, -v87
	v_fmac_f32_e32 v2, v6, v7
	v_fma_f32 v5, v5, v7, -v8
	v_mul_f32_e32 v6, v4, v14
	v_fma_f32 v7, v85, 2.0, -v59
	v_fmac_f32_e32 v58, v4, v13
	v_mul_f32_e32 v4, v54, v2
	v_mul_f32_e32 v2, v51, v2
	v_fma_f32 v8, v79, 2.0, -v56
	v_fma_f32 v6, v3, v13, -v6
	v_mul_f32_e32 v13, v7, v58
	s_wait_loadcnt 0x8
	v_mul_f32_e32 v14, v15, v22
	v_dual_fmac_f32 v9, v87, v68 :: v_dual_fmac_f32 v2, v54, v5
	v_fmac_f32_e32 v11, v83, v74
	v_fma_f32 v3, v51, v5, -v4
	s_delay_alu instid0(VALU_DEP_4) | instskip(SKIP_4) | instid1(VALU_DEP_4)
	v_fmac_f32_e32 v14, v16, v21
	v_mul_f32_e32 v4, v8, v58
	v_fma_f32 v5, v8, v6, -v13
	v_mul_f32_e32 v8, v16, v22
	v_fma_f32 v22, v50, 2.0, -v83
	v_dual_mul_f32 v19, v88, v76 :: v_dual_fmac_f32 v4, v7, v6
	v_fma_f32 v6, v49, 2.0, -v64
	s_delay_alu instid0(VALU_DEP_4) | instskip(NEXT) | instid1(VALU_DEP_4)
	v_fma_f32 v8, v15, v21, -v8
	v_mul_f32_e32 v7, v22, v14
	s_delay_alu instid0(VALU_DEP_4)
	v_fmac_f32_e32 v19, v89, v75
	v_fma_f32 v16, v52, 2.0, -v89
	v_fma_f32 v21, v53, 2.0, -v88
	v_fmac_f32_e32 v25, v91, v73
	v_fma_f32 v7, v6, v8, -v7
	v_mul_f32_e32 v6, v6, v14
	s_delay_alu instid0(VALU_DEP_1) | instskip(NEXT) | instid1(VALU_DEP_1)
	v_dual_mul_f32 v17, v56, v70 :: v_dual_fmac_f32 v6, v22, v8
	v_fmac_f32_e32 v17, v59, v71
	s_wait_loadcnt 0x6
	v_mul_f32_e32 v13, v23, v34
	s_wait_loadcnt 0x4
	v_dual_mul_f32 v15, v24, v34 :: v_dual_mul_f32 v8, v35, v41
	v_add_nc_u32_e32 v34, 24, v77
	s_wait_loadcnt 0x2
	v_dual_mul_f32 v22, v29, v32 :: v_dual_fmac_f32 v13, v24, v33
	s_delay_alu instid0(VALU_DEP_3)
	v_fma_f32 v15, v23, v33, -v15
	v_mul_f32_e32 v23, v36, v41
	v_fmac_f32_e32 v8, v36, v40
	v_mul_f32_e32 v24, v30, v32
	v_mul_f32_e32 v14, v16, v13
	v_dual_mul_f32 v13, v21, v13 :: v_dual_fmac_f32 v22, v30, v31
	v_fma_f32 v30, v57, 2.0, -v67
	s_delay_alu instid0(VALU_DEP_4) | instskip(NEXT) | instid1(VALU_DEP_4)
	v_fma_f32 v29, v29, v31, -v24
	v_fma_f32 v14, v21, v15, -v14
	s_delay_alu instid0(VALU_DEP_4)
	v_fmac_f32_e32 v13, v16, v15
	v_fma_f32 v21, v35, v40, -v23
	v_fma_f32 v23, v48, 2.0, -v91
	v_fma_f32 v16, v55, 2.0, -v90
	;; [unrolled: 1-line block ×3, first 2 shown]
	v_mul_f32_e32 v31, v22, v30
	v_fma_f32 v40, v62, 2.0, -v72
	v_mul_f32_e32 v32, v8, v23
	v_dual_mul_f32 v15, v8, v16 :: v_dual_add_nc_u32 v8, s6, v37
	v_fma_f32 v41, v93, 2.0, -v69
	s_delay_alu instid0(VALU_DEP_3) | instskip(NEXT) | instid1(VALU_DEP_3)
	v_fma_f32 v16, v21, v16, -v32
	v_fmac_f32_e32 v15, v21, v23
	v_mul_f32_e32 v21, v22, v24
	v_fma_f32 v22, v29, v24, -v31
	v_mad_co_u64_u32 v[23:24], null, s8, v77, v[8:9]
	v_mov_b32_e32 v24, 0
	s_wait_loadcnt 0x0
	v_dual_mul_f32 v32, v43, v45 :: v_dual_fmac_f32 v21, v29, v30
	v_mul_f32_e32 v31, v42, v45
	v_mad_co_u64_u32 v[34:35], null, s8, v34, v[8:9]
	v_lshlrev_b64_e32 v[29:30], 3, v[23:24]
	s_delay_alu instid0(VALU_DEP_4) | instskip(NEXT) | instid1(VALU_DEP_4)
	v_fma_f32 v23, v42, v44, -v32
	v_dual_fmac_f32 v31, v44, v43 :: v_dual_add_nc_u32 v32, 12, v77
	v_mov_b32_e32 v35, v24
	s_delay_alu instid0(VALU_DEP_4) | instskip(NEXT) | instid1(VALU_DEP_3)
	v_add_co_u32 v29, vcc_lo, s4, v29
	v_mad_co_u64_u32 v[32:33], null, s8, v32, v[8:9]
	v_mov_b32_e32 v33, v24
	v_mul_f32_e32 v42, v40, v31
	v_mul_f32_e32 v31, v41, v31
	s_wait_alu 0xfffd
	v_add_co_ci_u32_e32 v30, vcc_lo, s5, v30, vcc_lo
	v_lshlrev_b64_e32 v[36:37], 3, v[32:33]
	v_fma_f32 v32, v41, v23, -v42
	v_fmac_f32_e32 v31, v40, v23
	v_lshlrev_b64_e32 v[33:34], 3, v[34:35]
	v_add_nc_u32_e32 v23, 36, v77
	v_add_co_u32 v35, vcc_lo, s4, v36
	s_wait_alu 0xfffd
	v_add_co_ci_u32_e32 v36, vcc_lo, s5, v37, vcc_lo
	s_delay_alu instid0(VALU_DEP_3)
	v_mad_co_u64_u32 v[40:41], null, s8, v23, v[8:9]
	v_add_co_u32 v33, vcc_lo, s4, v33
	v_add_nc_u32_e32 v23, 60, v77
	s_wait_alu 0xfffd
	v_add_co_ci_u32_e32 v34, vcc_lo, s5, v34, vcc_lo
	v_mov_b32_e32 v41, v24
	s_clause 0x1
	global_store_b64 v[29:30], v[31:32], off
	global_store_b64 v[35:36], v[21:22], off
	v_add_nc_u32_e32 v21, 48, v77
	v_mad_co_u64_u32 v[29:30], null, s8, v23, v[8:9]
	v_mov_b32_e32 v30, v24
	global_store_b64 v[33:34], v[15:16], off
	v_lshlrev_b64_e32 v[15:16], 3, v[40:41]
	v_mad_co_u64_u32 v[21:22], null, s8, v21, v[8:9]
	v_dual_mov_b32 v22, v24 :: v_dual_add_nc_u32 v23, 0x48, v77
	s_delay_alu instid0(VALU_DEP_3) | instskip(SKIP_1) | instid1(VALU_DEP_4)
	v_add_co_u32 v15, vcc_lo, s4, v15
	s_wait_alu 0xfffd
	v_add_co_ci_u32_e32 v16, vcc_lo, s5, v16, vcc_lo
	s_delay_alu instid0(VALU_DEP_3)
	v_lshlrev_b64_e32 v[21:22], 3, v[21:22]
	v_mad_co_u64_u32 v[31:32], null, s8, v23, v[8:9]
	v_mov_b32_e32 v32, v24
	global_store_b64 v[15:16], v[13:14], off
	v_lshlrev_b64_e32 v[13:14], 3, v[29:30]
	v_add_co_u32 v15, vcc_lo, s4, v21
	s_wait_alu 0xfffd
	v_add_co_ci_u32_e32 v16, vcc_lo, s5, v22, vcc_lo
	v_lshlrev_b64_e32 v[21:22], 3, v[31:32]
	v_add_nc_u32_e32 v23, 0x54, v77
	v_add_co_u32 v13, vcc_lo, s4, v13
	s_wait_alu 0xfffd
	v_add_co_ci_u32_e32 v14, vcc_lo, s5, v14, vcc_lo
	s_delay_alu instid0(VALU_DEP_3)
	v_mad_co_u64_u32 v[29:30], null, s8, v23, v[8:9]
	v_add_co_u32 v21, vcc_lo, s4, v21
	s_wait_alu 0xfffd
	v_add_co_ci_u32_e32 v22, vcc_lo, s5, v22, vcc_lo
	v_mov_b32_e32 v30, v24
	s_clause 0x1
	global_store_b64 v[15:16], v[6:7], off
	global_store_b64 v[13:14], v[4:5], off
	v_add_nc_u32_e32 v4, 0x60, v77
	global_store_b64 v[21:22], v[2:3], off
	v_add_nc_u32_e32 v6, 0x6c, v77
	v_lshlrev_b64_e32 v[2:3], 3, v[29:30]
	v_add_nc_u32_e32 v13, 0x78, v77
	v_mad_co_u64_u32 v[4:5], null, s8, v4, v[8:9]
	v_mov_b32_e32 v5, v24
	v_mad_co_u64_u32 v[6:7], null, s8, v6, v[8:9]
	v_add_co_u32 v2, vcc_lo, s4, v2
	s_wait_alu 0xfffd
	v_add_co_ci_u32_e32 v3, vcc_lo, s5, v3, vcc_lo
	v_mov_b32_e32 v7, v24
	v_mad_co_u64_u32 v[13:14], null, s8, v13, v[8:9]
	v_lshlrev_b64_e32 v[4:5], 3, v[4:5]
	v_mov_b32_e32 v14, v24
	global_store_b64 v[2:3], v[38:39], off
	v_lshlrev_b64_e32 v[2:3], 3, v[6:7]
	v_add_nc_u32_e32 v15, 0xb4, v77
	v_add_co_u32 v4, vcc_lo, s4, v4
	v_lshlrev_b64_e32 v[6:7], 3, v[13:14]
	s_wait_alu 0xfffd
	v_add_co_ci_u32_e32 v5, vcc_lo, s5, v5, vcc_lo
	v_add_nc_u32_e32 v13, 0x84, v77
	v_add_co_u32 v2, vcc_lo, s4, v2
	s_wait_alu 0xfffd
	v_add_co_ci_u32_e32 v3, vcc_lo, s5, v3, vcc_lo
	v_add_co_u32 v6, vcc_lo, s4, v6
	v_mad_co_u64_u32 v[13:14], null, s8, v13, v[8:9]
	s_wait_alu 0xfffd
	v_add_co_ci_u32_e32 v7, vcc_lo, s5, v7, vcc_lo
	s_clause 0x1
	global_store_b64 v[4:5], v[27:28], off
	global_store_b64 v[2:3], v[46:47], off
	v_add_nc_u32_e32 v4, 0x90, v77
	v_mov_b32_e32 v14, v24
	global_store_b64 v[6:7], v[25:26], off
	v_add_nc_u32_e32 v6, 0x9c, v77
	v_mad_co_u64_u32 v[15:16], null, s8, v15, v[8:9]
	v_mov_b32_e32 v16, v24
	v_mad_co_u64_u32 v[4:5], null, s8, v4, v[8:9]
	v_lshlrev_b64_e32 v[2:3], 3, v[13:14]
	v_add_nc_u32_e32 v13, 0xa8, v77
	v_mov_b32_e32 v5, v24
	v_mad_co_u64_u32 v[6:7], null, s8, v6, v[8:9]
	v_mov_b32_e32 v7, v24
	s_delay_alu instid0(VALU_DEP_4) | instskip(NEXT) | instid1(VALU_DEP_4)
	v_mad_co_u64_u32 v[13:14], null, s8, v13, v[8:9]
	v_lshlrev_b64_e32 v[4:5], 3, v[4:5]
	v_mov_b32_e32 v14, v24
	v_add_co_u32 v2, vcc_lo, s4, v2
	v_lshlrev_b64_e32 v[6:7], 3, v[6:7]
	s_wait_alu 0xfffd
	v_add_co_ci_u32_e32 v3, vcc_lo, s5, v3, vcc_lo
	v_add_co_u32 v4, vcc_lo, s4, v4
	v_lshlrev_b64_e32 v[13:14], 3, v[13:14]
	s_wait_alu 0xfffd
	v_add_co_ci_u32_e32 v5, vcc_lo, s5, v5, vcc_lo
	;; [unrolled: 4-line block ×3, first 2 shown]
	v_add_co_u32 v13, vcc_lo, s4, v13
	s_wait_alu 0xfffd
	v_add_co_ci_u32_e32 v14, vcc_lo, s5, v14, vcc_lo
	v_add_co_u32 v15, vcc_lo, s4, v15
	s_wait_alu 0xfffd
	v_add_co_ci_u32_e32 v16, vcc_lo, s5, v16, vcc_lo
	s_clause 0x4
	global_store_b64 v[2:3], v[19:20], off
	global_store_b64 v[4:5], v[11:12], off
	;; [unrolled: 1-line block ×5, first 2 shown]
.LBB0_34:
	s_nop 0
	s_sendmsg sendmsg(MSG_DEALLOC_VGPRS)
	s_endpgm
	.section	.rodata,"a",@progbits
	.p2align	6, 0x0
	.amdhsa_kernel fft_rtc_back_len192_factors_4_3_16_wgs_256_tpt_16_dim3_sp_ip_CI_sbcc_twdbase8_2step_dirReg_intrinsicReadWrite
		.amdhsa_group_segment_fixed_size 0
		.amdhsa_private_segment_fixed_size 0
		.amdhsa_kernarg_size 88
		.amdhsa_user_sgpr_count 2
		.amdhsa_user_sgpr_dispatch_ptr 0
		.amdhsa_user_sgpr_queue_ptr 0
		.amdhsa_user_sgpr_kernarg_segment_ptr 1
		.amdhsa_user_sgpr_dispatch_id 0
		.amdhsa_user_sgpr_private_segment_size 0
		.amdhsa_wavefront_size32 1
		.amdhsa_uses_dynamic_stack 0
		.amdhsa_enable_private_segment 0
		.amdhsa_system_sgpr_workgroup_id_x 1
		.amdhsa_system_sgpr_workgroup_id_y 0
		.amdhsa_system_sgpr_workgroup_id_z 0
		.amdhsa_system_sgpr_workgroup_info 0
		.amdhsa_system_vgpr_workitem_id 0
		.amdhsa_next_free_vgpr 94
		.amdhsa_next_free_sgpr 26
		.amdhsa_reserve_vcc 1
		.amdhsa_float_round_mode_32 0
		.amdhsa_float_round_mode_16_64 0
		.amdhsa_float_denorm_mode_32 3
		.amdhsa_float_denorm_mode_16_64 3
		.amdhsa_fp16_overflow 0
		.amdhsa_workgroup_processor_mode 1
		.amdhsa_memory_ordered 1
		.amdhsa_forward_progress 0
		.amdhsa_round_robin_scheduling 0
		.amdhsa_exception_fp_ieee_invalid_op 0
		.amdhsa_exception_fp_denorm_src 0
		.amdhsa_exception_fp_ieee_div_zero 0
		.amdhsa_exception_fp_ieee_overflow 0
		.amdhsa_exception_fp_ieee_underflow 0
		.amdhsa_exception_fp_ieee_inexact 0
		.amdhsa_exception_int_div_zero 0
	.end_amdhsa_kernel
	.text
.Lfunc_end0:
	.size	fft_rtc_back_len192_factors_4_3_16_wgs_256_tpt_16_dim3_sp_ip_CI_sbcc_twdbase8_2step_dirReg_intrinsicReadWrite, .Lfunc_end0-fft_rtc_back_len192_factors_4_3_16_wgs_256_tpt_16_dim3_sp_ip_CI_sbcc_twdbase8_2step_dirReg_intrinsicReadWrite
                                        ; -- End function
	.section	.AMDGPU.csdata,"",@progbits
; Kernel info:
; codeLenInByte = 7588
; NumSgprs: 28
; NumVgprs: 94
; ScratchSize: 0
; MemoryBound: 0
; FloatMode: 240
; IeeeMode: 1
; LDSByteSize: 0 bytes/workgroup (compile time only)
; SGPRBlocks: 3
; VGPRBlocks: 11
; NumSGPRsForWavesPerEU: 28
; NumVGPRsForWavesPerEU: 94
; Occupancy: 16
; WaveLimiterHint : 1
; COMPUTE_PGM_RSRC2:SCRATCH_EN: 0
; COMPUTE_PGM_RSRC2:USER_SGPR: 2
; COMPUTE_PGM_RSRC2:TRAP_HANDLER: 0
; COMPUTE_PGM_RSRC2:TGID_X_EN: 1
; COMPUTE_PGM_RSRC2:TGID_Y_EN: 0
; COMPUTE_PGM_RSRC2:TGID_Z_EN: 0
; COMPUTE_PGM_RSRC2:TIDIG_COMP_CNT: 0
	.text
	.p2alignl 7, 3214868480
	.fill 96, 4, 3214868480
	.type	__hip_cuid_2f5e0c65a2b7ca76,@object ; @__hip_cuid_2f5e0c65a2b7ca76
	.section	.bss,"aw",@nobits
	.globl	__hip_cuid_2f5e0c65a2b7ca76
__hip_cuid_2f5e0c65a2b7ca76:
	.byte	0                               ; 0x0
	.size	__hip_cuid_2f5e0c65a2b7ca76, 1

	.ident	"AMD clang version 19.0.0git (https://github.com/RadeonOpenCompute/llvm-project roc-6.4.0 25133 c7fe45cf4b819c5991fe208aaa96edf142730f1d)"
	.section	".note.GNU-stack","",@progbits
	.addrsig
	.addrsig_sym __hip_cuid_2f5e0c65a2b7ca76
	.amdgpu_metadata
---
amdhsa.kernels:
  - .args:
      - .actual_access:  read_only
        .address_space:  global
        .offset:         0
        .size:           8
        .value_kind:     global_buffer
      - .address_space:  global
        .offset:         8
        .size:           8
        .value_kind:     global_buffer
      - .actual_access:  read_only
        .address_space:  global
        .offset:         16
        .size:           8
        .value_kind:     global_buffer
      - .actual_access:  read_only
        .address_space:  global
        .offset:         24
        .size:           8
        .value_kind:     global_buffer
      - .offset:         32
        .size:           8
        .value_kind:     by_value
      - .actual_access:  read_only
        .address_space:  global
        .offset:         40
        .size:           8
        .value_kind:     global_buffer
      - .actual_access:  read_only
        .address_space:  global
        .offset:         48
        .size:           8
        .value_kind:     global_buffer
      - .offset:         56
        .size:           4
        .value_kind:     by_value
      - .actual_access:  read_only
        .address_space:  global
        .offset:         64
        .size:           8
        .value_kind:     global_buffer
      - .actual_access:  read_only
        .address_space:  global
        .offset:         72
        .size:           8
        .value_kind:     global_buffer
      - .address_space:  global
        .offset:         80
        .size:           8
        .value_kind:     global_buffer
    .group_segment_fixed_size: 0
    .kernarg_segment_align: 8
    .kernarg_segment_size: 88
    .language:       OpenCL C
    .language_version:
      - 2
      - 0
    .max_flat_workgroup_size: 256
    .name:           fft_rtc_back_len192_factors_4_3_16_wgs_256_tpt_16_dim3_sp_ip_CI_sbcc_twdbase8_2step_dirReg_intrinsicReadWrite
    .private_segment_fixed_size: 0
    .sgpr_count:     28
    .sgpr_spill_count: 0
    .symbol:         fft_rtc_back_len192_factors_4_3_16_wgs_256_tpt_16_dim3_sp_ip_CI_sbcc_twdbase8_2step_dirReg_intrinsicReadWrite.kd
    .uniform_work_group_size: 1
    .uses_dynamic_stack: false
    .vgpr_count:     94
    .vgpr_spill_count: 0
    .wavefront_size: 32
    .workgroup_processor_mode: 1
amdhsa.target:   amdgcn-amd-amdhsa--gfx1201
amdhsa.version:
  - 1
  - 2
...

	.end_amdgpu_metadata
